;; amdgpu-corpus repo=LLNL/RAJAPerf kind=compiled arch=gfx1100 opt=O3
	.text
	.amdgcn_target "amdgcn-amd-amdhsa--gfx1100"
	.amdhsa_code_object_version 6
	.section	.text._ZN8rajaperf5basic16indexlist_customILm256ELm15EEEvPdPiPlS4_PjS4_l,"axG",@progbits,_ZN8rajaperf5basic16indexlist_customILm256ELm15EEEvPdPiPlS4_PjS4_l,comdat
	.protected	_ZN8rajaperf5basic16indexlist_customILm256ELm15EEEvPdPiPlS4_PjS4_l ; -- Begin function _ZN8rajaperf5basic16indexlist_customILm256ELm15EEEvPdPiPlS4_PjS4_l
	.globl	_ZN8rajaperf5basic16indexlist_customILm256ELm15EEEvPdPiPlS4_PjS4_l
	.p2align	8
	.type	_ZN8rajaperf5basic16indexlist_customILm256ELm15EEEvPdPiPlS4_PjS4_l,@function
_ZN8rajaperf5basic16indexlist_customILm256ELm15EEEvPdPiPlS4_PjS4_l: ; @_ZN8rajaperf5basic16indexlist_customILm256ELm15EEEvPdPiPlS4_PjS4_l
; %bb.0:
	s_clause 0x1
	s_load_b128 s[28:31], s[0:1], 0x30
	s_load_b256 s[20:27], s[0:1], 0x0
	s_mul_hi_i32 s2, s15, 0xf00
	s_mul_i32 s3, s15, 0xf00
	v_dual_mov_b32 v58, s2 :: v_dual_mov_b32 v1, 0
	v_or_b32_e32 v57, s3, v0
	v_mov_b32_e32 v2, 0
	s_mov_b32 s18, s15
	s_delay_alu instid0(VALU_DEP_2) | instskip(NEXT) | instid1(VALU_DEP_2)
	v_lshlrev_b64 v[5:6], 3, v[57:58]
	v_dual_mov_b32 v4, v2 :: v_dual_mov_b32 v3, v1
	s_waitcnt lgkmcnt(0)
	v_cmp_gt_i64_e64 s2, s[28:29], v[57:58]
	s_delay_alu instid0(VALU_DEP_1)
	s_and_saveexec_b32 s3, s2
	s_cbranch_execz .LBB0_4
; %bb.1:
	v_add_co_u32 v3, vcc_lo, s20, v5
	v_add_co_ci_u32_e32 v4, vcc_lo, s21, v6, vcc_lo
	global_load_b64 v[3:4], v[3:4], off
	s_waitcnt vmcnt(0)
	v_cmp_gt_f64_e32 vcc_lo, 0, v[3:4]
	v_mov_b32_e32 v3, 0
	v_mov_b32_e32 v4, 0
	s_and_saveexec_b32 s4, vcc_lo
; %bb.2:
	v_mov_b32_e32 v3, 1
	v_mov_b32_e32 v4, 0
; %bb.3:
	s_or_b32 exec_lo, exec_lo, s4
.LBB0_4:
	s_delay_alu instid0(SALU_CYCLE_1) | instskip(SKIP_2) | instid1(VALU_DEP_1)
	s_or_b32 exec_lo, exec_lo, s3
	v_add_co_u32 v61, vcc_lo, 0x100, v57
	v_add_co_ci_u32_e32 v62, vcc_lo, 0, v58, vcc_lo
	v_cmp_gt_i64_e64 s3, s[28:29], v[61:62]
	s_delay_alu instid0(VALU_DEP_1)
	s_and_saveexec_b32 s4, s3
	s_cbranch_execz .LBB0_8
; %bb.5:
	v_add_co_u32 v1, vcc_lo, s20, v5
	v_add_co_ci_u32_e32 v2, vcc_lo, s21, v6, vcc_lo
	global_load_b64 v[1:2], v[1:2], off offset:2048
	s_waitcnt vmcnt(0)
	v_cmp_gt_f64_e32 vcc_lo, 0, v[1:2]
	v_mov_b32_e32 v1, 0
	v_mov_b32_e32 v2, 0
	s_and_saveexec_b32 s5, vcc_lo
; %bb.6:
	v_mov_b32_e32 v1, 1
	v_mov_b32_e32 v2, 0
; %bb.7:
	s_or_b32 exec_lo, exec_lo, s5
.LBB0_8:
	s_delay_alu instid0(SALU_CYCLE_1) | instskip(SKIP_4) | instid1(VALU_DEP_3)
	s_or_b32 exec_lo, exec_lo, s4
	v_add_co_u32 v59, vcc_lo, 0x200, v57
	v_add_co_ci_u32_e32 v60, vcc_lo, 0, v58, vcc_lo
	v_mov_b32_e32 v5, 0
	v_mov_b32_e32 v6, 0
	v_cmp_gt_i64_e64 s4, s[28:29], v[59:60]
	s_delay_alu instid0(VALU_DEP_2) | instskip(NEXT) | instid1(VALU_DEP_2)
	v_dual_mov_b32 v8, v6 :: v_dual_mov_b32 v7, v5
	s_and_saveexec_b32 s5, s4
	s_cbranch_execz .LBB0_12
; %bb.9:
	v_lshlrev_b64 v[7:8], 3, v[59:60]
	s_delay_alu instid0(VALU_DEP_1) | instskip(NEXT) | instid1(VALU_DEP_2)
	v_add_co_u32 v7, vcc_lo, s20, v7
	v_add_co_ci_u32_e32 v8, vcc_lo, s21, v8, vcc_lo
	global_load_b64 v[7:8], v[7:8], off
	s_waitcnt vmcnt(0)
	v_cmp_gt_f64_e32 vcc_lo, 0, v[7:8]
	v_mov_b32_e32 v7, 0
	v_mov_b32_e32 v8, 0
	s_and_saveexec_b32 s6, vcc_lo
; %bb.10:
	v_mov_b32_e32 v7, 1
	v_mov_b32_e32 v8, 0
; %bb.11:
	s_or_b32 exec_lo, exec_lo, s6
.LBB0_12:
	s_delay_alu instid0(SALU_CYCLE_1) | instskip(SKIP_2) | instid1(VALU_DEP_1)
	s_or_b32 exec_lo, exec_lo, s5
	v_add_co_u32 v63, vcc_lo, 0x300, v57
	v_add_co_ci_u32_e32 v64, vcc_lo, 0, v58, vcc_lo
	v_cmp_gt_i64_e64 s5, s[28:29], v[63:64]
	s_delay_alu instid0(VALU_DEP_1)
	s_and_saveexec_b32 s6, s5
	s_cbranch_execz .LBB0_16
; %bb.13:
	v_lshlrev_b64 v[5:6], 3, v[63:64]
	s_delay_alu instid0(VALU_DEP_1) | instskip(NEXT) | instid1(VALU_DEP_2)
	v_add_co_u32 v5, vcc_lo, s20, v5
	v_add_co_ci_u32_e32 v6, vcc_lo, s21, v6, vcc_lo
	global_load_b64 v[5:6], v[5:6], off
	s_waitcnt vmcnt(0)
	v_cmp_gt_f64_e32 vcc_lo, 0, v[5:6]
	v_mov_b32_e32 v5, 0
	v_mov_b32_e32 v6, 0
	s_and_saveexec_b32 s7, vcc_lo
; %bb.14:
	v_mov_b32_e32 v5, 1
	v_mov_b32_e32 v6, 0
; %bb.15:
	s_or_b32 exec_lo, exec_lo, s7
.LBB0_16:
	s_delay_alu instid0(SALU_CYCLE_1) | instskip(SKIP_4) | instid1(VALU_DEP_3)
	s_or_b32 exec_lo, exec_lo, s6
	v_add_co_u32 v65, vcc_lo, 0x400, v57
	v_add_co_ci_u32_e32 v66, vcc_lo, 0, v58, vcc_lo
	v_mov_b32_e32 v9, 0
	v_mov_b32_e32 v10, 0
	v_cmp_gt_i64_e64 s6, s[28:29], v[65:66]
	s_delay_alu instid0(VALU_DEP_2) | instskip(NEXT) | instid1(VALU_DEP_2)
	v_dual_mov_b32 v12, v10 :: v_dual_mov_b32 v11, v9
	s_and_saveexec_b32 s7, s6
	s_cbranch_execz .LBB0_20
; %bb.17:
	v_lshlrev_b64 v[11:12], 3, v[65:66]
	s_delay_alu instid0(VALU_DEP_1) | instskip(NEXT) | instid1(VALU_DEP_2)
	v_add_co_u32 v11, vcc_lo, s20, v11
	v_add_co_ci_u32_e32 v12, vcc_lo, s21, v12, vcc_lo
	global_load_b64 v[11:12], v[11:12], off
	s_waitcnt vmcnt(0)
	v_cmp_gt_f64_e32 vcc_lo, 0, v[11:12]
	v_mov_b32_e32 v11, 0
	v_mov_b32_e32 v12, 0
	s_and_saveexec_b32 s8, vcc_lo
; %bb.18:
	v_mov_b32_e32 v11, 1
	v_mov_b32_e32 v12, 0
; %bb.19:
	s_or_b32 exec_lo, exec_lo, s8
.LBB0_20:
	s_delay_alu instid0(SALU_CYCLE_1) | instskip(SKIP_2) | instid1(VALU_DEP_1)
	s_or_b32 exec_lo, exec_lo, s7
	v_add_co_u32 v67, vcc_lo, 0x500, v57
	v_add_co_ci_u32_e32 v68, vcc_lo, 0, v58, vcc_lo
	v_cmp_gt_i64_e64 s7, s[28:29], v[67:68]
	s_delay_alu instid0(VALU_DEP_1)
	s_and_saveexec_b32 s8, s7
	s_cbranch_execz .LBB0_24
; %bb.21:
	v_lshlrev_b64 v[9:10], 3, v[67:68]
	s_delay_alu instid0(VALU_DEP_1) | instskip(NEXT) | instid1(VALU_DEP_2)
	v_add_co_u32 v9, vcc_lo, s20, v9
	v_add_co_ci_u32_e32 v10, vcc_lo, s21, v10, vcc_lo
	global_load_b64 v[9:10], v[9:10], off
	s_waitcnt vmcnt(0)
	v_cmp_gt_f64_e32 vcc_lo, 0, v[9:10]
	v_mov_b32_e32 v9, 0
	v_mov_b32_e32 v10, 0
	s_and_saveexec_b32 s9, vcc_lo
; %bb.22:
	v_mov_b32_e32 v9, 1
	v_mov_b32_e32 v10, 0
; %bb.23:
	s_or_b32 exec_lo, exec_lo, s9
.LBB0_24:
	;; [unrolled: 53-line block ×6, first 2 shown]
	s_delay_alu instid0(SALU_CYCLE_1) | instskip(SKIP_4) | instid1(VALU_DEP_3)
	s_or_b32 exec_lo, exec_lo, s16
	v_add_co_u32 v85, vcc_lo, 0xe00, v57
	v_add_co_ci_u32_e32 v86, vcc_lo, 0, v58, vcc_lo
	v_mov_b32_e32 v29, 0
	v_mov_b32_e32 v30, 0
	v_cmp_gt_i64_e64 s16, s[28:29], v[85:86]
	s_delay_alu instid0(VALU_DEP_1)
	s_and_saveexec_b32 s17, s16
	s_cbranch_execz .LBB0_60
; %bb.57:
	v_lshlrev_b64 v[29:30], 3, v[85:86]
	s_delay_alu instid0(VALU_DEP_1) | instskip(NEXT) | instid1(VALU_DEP_2)
	v_add_co_u32 v29, vcc_lo, s20, v29
	v_add_co_ci_u32_e32 v30, vcc_lo, s21, v30, vcc_lo
	global_load_b64 v[29:30], v[29:30], off
	s_waitcnt vmcnt(0)
	v_cmp_gt_f64_e32 vcc_lo, 0, v[29:30]
	v_mov_b32_e32 v29, 0
	v_mov_b32_e32 v30, 0
	s_and_saveexec_b32 s19, vcc_lo
; %bb.58:
	v_mov_b32_e32 v29, 1
	v_mov_b32_e32 v30, 0
; %bb.59:
	s_or_b32 exec_lo, exec_lo, s19
.LBB0_60:
	s_delay_alu instid0(SALU_CYCLE_1)
	s_or_b32 exec_lo, exec_lo, s17
	v_lshlrev_b32_e32 v35, 3, v0
	s_load_b32 s17, s[0:1], 0x38
	v_mbcnt_lo_u32_b32 v36, -1, 0
	s_mov_b32 s19, exec_lo
	ds_store_2addr_stride64_b64 v35, v[3:4], v[1:2] offset1:4
	ds_store_2addr_stride64_b64 v35, v[7:8], v[5:6] offset0:8 offset1:12
	ds_store_2addr_stride64_b64 v35, v[11:12], v[9:10] offset0:16 offset1:20
	ds_store_2addr_stride64_b64 v35, v[15:16], v[13:14] offset0:24 offset1:28
	ds_store_2addr_stride64_b64 v35, v[19:20], v[17:18] offset0:32 offset1:36
	ds_store_2addr_stride64_b64 v35, v[23:24], v[21:22] offset0:40 offset1:44
	ds_store_2addr_stride64_b64 v35, v[27:28], v[25:26] offset0:48 offset1:52
	v_mad_u32_u24 v31, 0x70, v0, v35
	ds_store_b64 v35, v[29:30] offset:28672
	s_waitcnt lgkmcnt(0)
	s_barrier
	buffer_gl0_inv
	ds_load_2addr_b64 v[9:12], v31 offset1:1
	ds_load_2addr_b64 v[1:4], v31 offset0:2 offset1:3
	ds_load_2addr_b64 v[5:8], v31 offset0:4 offset1:5
	;; [unrolled: 1-line block ×5, first 2 shown]
	s_waitcnt lgkmcnt(5)
	v_add_co_u32 v13, vcc_lo, v11, v9
	v_add_co_ci_u32_e32 v14, vcc_lo, v12, v10, vcc_lo
	s_waitcnt lgkmcnt(4)
	s_delay_alu instid0(VALU_DEP_2) | instskip(NEXT) | instid1(VALU_DEP_2)
	v_add_co_u32 v13, vcc_lo, v13, v1
	v_add_co_ci_u32_e32 v14, vcc_lo, v14, v2, vcc_lo
	s_delay_alu instid0(VALU_DEP_2) | instskip(NEXT) | instid1(VALU_DEP_2)
	v_add_co_u32 v13, vcc_lo, v13, v3
	v_add_co_ci_u32_e32 v14, vcc_lo, v14, v4, vcc_lo
	s_waitcnt lgkmcnt(3)
	s_delay_alu instid0(VALU_DEP_2) | instskip(NEXT) | instid1(VALU_DEP_2)
	v_add_co_u32 v13, vcc_lo, v13, v5
	v_add_co_ci_u32_e32 v14, vcc_lo, v14, v6, vcc_lo
	s_delay_alu instid0(VALU_DEP_2) | instskip(NEXT) | instid1(VALU_DEP_2)
	;; [unrolled: 7-line block ×3, first 2 shown]
	v_add_co_u32 v29, vcc_lo, v13, v27
	v_add_co_ci_u32_e32 v30, vcc_lo, v14, v28, vcc_lo
	ds_load_2addr_b64 v[13:16], v31 offset0:12 offset1:13
	s_waitcnt lgkmcnt(2)
	v_add_co_u32 v29, vcc_lo, v29, v21
	v_add_co_ci_u32_e32 v30, vcc_lo, v30, v22, vcc_lo
	s_delay_alu instid0(VALU_DEP_2) | instskip(NEXT) | instid1(VALU_DEP_2)
	v_add_co_u32 v32, vcc_lo, v29, v23
	v_add_co_ci_u32_e32 v33, vcc_lo, v30, v24, vcc_lo
	ds_load_b64 v[29:30], v31 offset:112
	s_waitcnt lgkmcnt(2)
	v_add_co_u32 v31, vcc_lo, v32, v17
	v_add_co_ci_u32_e32 v32, vcc_lo, v33, v18, vcc_lo
	s_waitcnt lgkmcnt(0)
	s_delay_alu instid0(VALU_DEP_2) | instskip(NEXT) | instid1(VALU_DEP_2)
	v_add_co_u32 v31, vcc_lo, v31, v19
	v_add_co_ci_u32_e32 v32, vcc_lo, v32, v20, vcc_lo
	s_barrier
	s_delay_alu instid0(VALU_DEP_2) | instskip(NEXT) | instid1(VALU_DEP_2)
	v_add_co_u32 v31, vcc_lo, v31, v13
	v_add_co_ci_u32_e32 v32, vcc_lo, v32, v14, vcc_lo
	buffer_gl0_inv
	v_add_co_u32 v31, vcc_lo, v31, v15
	v_add_co_ci_u32_e32 v32, vcc_lo, v32, v16, vcc_lo
	s_delay_alu instid0(VALU_DEP_2) | instskip(NEXT) | instid1(VALU_DEP_2)
	v_add_co_u32 v31, vcc_lo, v31, v29
	v_add_co_ci_u32_e32 v32, vcc_lo, v32, v30, vcc_lo
	s_delay_alu instid0(VALU_DEP_2) | instskip(SKIP_1) | instid1(VALU_DEP_3)
	v_dual_mov_b32 v33, v31 :: v_dual_and_b32 v34, 15, v36
	v_mov_b32_dpp v38, v31 row_shr:1 row_mask:0xf bank_mask:0xf
	v_mov_b32_dpp v37, v32 row_shr:1 row_mask:0xf bank_mask:0xf
	s_delay_alu instid0(VALU_DEP_3)
	v_cmpx_ne_u32_e32 0, v34
	s_xor_b32 s19, exec_lo, s19
; %bb.61:
	s_delay_alu instid0(VALU_DEP_3) | instskip(SKIP_1) | instid1(VALU_DEP_2)
	v_add_co_u32 v33, vcc_lo, v31, v38
	v_add_co_ci_u32_e32 v32, vcc_lo, 0, v32, vcc_lo
	v_add_co_u32 v31, vcc_lo, 0, v33
	s_delay_alu instid0(VALU_DEP_2)
	v_add_co_ci_u32_e32 v32, vcc_lo, v37, v32, vcc_lo
; %bb.62:
	s_or_b32 exec_lo, exec_lo, s19
	v_mov_b32_dpp v38, v33 row_shr:2 row_mask:0xf bank_mask:0xf
	s_delay_alu instid0(VALU_DEP_2)
	v_mov_b32_dpp v37, v32 row_shr:2 row_mask:0xf bank_mask:0xf
	s_mov_b32 s19, exec_lo
	v_cmpx_lt_u32_e32 1, v34
; %bb.63:
	s_delay_alu instid0(VALU_DEP_3) | instskip(SKIP_1) | instid1(VALU_DEP_2)
	v_add_co_u32 v33, vcc_lo, v31, v38
	v_add_co_ci_u32_e32 v32, vcc_lo, 0, v32, vcc_lo
	v_add_co_u32 v31, vcc_lo, 0, v33
	s_delay_alu instid0(VALU_DEP_2)
	v_add_co_ci_u32_e32 v32, vcc_lo, v37, v32, vcc_lo
; %bb.64:
	s_or_b32 exec_lo, exec_lo, s19
	v_mov_b32_dpp v38, v33 row_shr:4 row_mask:0xf bank_mask:0xf
	s_delay_alu instid0(VALU_DEP_2)
	v_mov_b32_dpp v37, v32 row_shr:4 row_mask:0xf bank_mask:0xf
	s_mov_b32 s19, exec_lo
	v_cmpx_lt_u32_e32 3, v34
; %bb.65:
	s_delay_alu instid0(VALU_DEP_3) | instskip(SKIP_1) | instid1(VALU_DEP_2)
	v_add_co_u32 v33, vcc_lo, v31, v38
	v_add_co_ci_u32_e32 v32, vcc_lo, 0, v32, vcc_lo
	v_add_co_u32 v31, vcc_lo, 0, v33
	s_delay_alu instid0(VALU_DEP_2)
	v_add_co_ci_u32_e32 v32, vcc_lo, v37, v32, vcc_lo
; %bb.66:
	s_or_b32 exec_lo, exec_lo, s19
	v_mov_b32_dpp v38, v33 row_shr:8 row_mask:0xf bank_mask:0xf
	s_delay_alu instid0(VALU_DEP_2)
	v_mov_b32_dpp v37, v32 row_shr:8 row_mask:0xf bank_mask:0xf
	s_mov_b32 s19, exec_lo
	v_cmpx_lt_u32_e32 7, v34
; %bb.67:
	s_delay_alu instid0(VALU_DEP_3) | instskip(SKIP_1) | instid1(VALU_DEP_2)
	v_add_co_u32 v33, vcc_lo, v31, v38
	v_add_co_ci_u32_e32 v32, vcc_lo, 0, v32, vcc_lo
	v_add_co_u32 v31, vcc_lo, 0, v33
	s_delay_alu instid0(VALU_DEP_2)
	v_add_co_ci_u32_e32 v32, vcc_lo, v37, v32, vcc_lo
; %bb.68:
	s_or_b32 exec_lo, exec_lo, s19
	ds_swizzle_b32 v34, v33 offset:swizzle(BROADCAST,32,15)
	ds_swizzle_b32 v33, v32 offset:swizzle(BROADCAST,32,15)
	v_and_b32_e32 v37, 16, v36
	s_mov_b32 s19, exec_lo
	s_delay_alu instid0(VALU_DEP_1)
	v_cmpx_ne_u32_e32 0, v37
	s_cbranch_execz .LBB0_70
; %bb.69:
	s_waitcnt lgkmcnt(1)
	v_add_co_u32 v31, vcc_lo, v31, v34
	v_add_co_ci_u32_e32 v32, vcc_lo, 0, v32, vcc_lo
	s_delay_alu instid0(VALU_DEP_2) | instskip(SKIP_1) | instid1(VALU_DEP_2)
	v_add_co_u32 v31, vcc_lo, v31, 0
	s_waitcnt lgkmcnt(0)
	v_add_co_ci_u32_e32 v32, vcc_lo, v32, v33, vcc_lo
.LBB0_70:
	s_or_b32 exec_lo, exec_lo, s19
	s_load_b128 s[36:39], s[0:1], 0x20
	s_waitcnt lgkmcnt(0)
	v_or_b32_e32 v33, 31, v0
	v_lshrrev_b32_e32 v37, 5, v0
	s_ashr_i32 s19, s18, 31
	s_mov_b32 s0, exec_lo
	s_delay_alu instid0(VALU_DEP_2)
	v_cmpx_eq_u32_e64 v33, v0
	s_cbranch_execz .LBB0_72
; %bb.71:
	v_lshlrev_b32_e32 v33, 3, v37
	ds_store_b64 v33, v[31:32]
.LBB0_72:
	s_or_b32 exec_lo, exec_lo, s0
	s_delay_alu instid0(SALU_CYCLE_1)
	s_mov_b32 s0, exec_lo
	s_waitcnt lgkmcnt(0)
	s_barrier
	buffer_gl0_inv
	v_cmpx_gt_u32_e32 8, v0
	s_cbranch_execz .LBB0_80
; %bb.73:
	ds_load_b64 v[33:34], v35
	v_and_b32_e32 v38, 7, v36
	s_mov_b32 s1, exec_lo
	s_waitcnt lgkmcnt(0)
	v_mov_b32_e32 v39, v33
	v_mov_b32_dpp v41, v33 row_shr:1 row_mask:0xf bank_mask:0xf
	v_mov_b32_dpp v40, v34 row_shr:1 row_mask:0xf bank_mask:0xf
	v_cmpx_ne_u32_e32 0, v38
; %bb.74:
	s_delay_alu instid0(VALU_DEP_3) | instskip(SKIP_1) | instid1(VALU_DEP_2)
	v_add_co_u32 v39, vcc_lo, v33, v41
	v_add_co_ci_u32_e32 v34, vcc_lo, 0, v34, vcc_lo
	v_add_co_u32 v33, vcc_lo, 0, v39
	s_delay_alu instid0(VALU_DEP_2)
	v_add_co_ci_u32_e32 v34, vcc_lo, v40, v34, vcc_lo
; %bb.75:
	s_or_b32 exec_lo, exec_lo, s1
	v_mov_b32_dpp v41, v39 row_shr:2 row_mask:0xf bank_mask:0xf
	s_delay_alu instid0(VALU_DEP_2)
	v_mov_b32_dpp v40, v34 row_shr:2 row_mask:0xf bank_mask:0xf
	s_mov_b32 s1, exec_lo
	v_cmpx_lt_u32_e32 1, v38
; %bb.76:
	s_delay_alu instid0(VALU_DEP_3) | instskip(SKIP_1) | instid1(VALU_DEP_2)
	v_add_co_u32 v39, vcc_lo, v33, v41
	v_add_co_ci_u32_e32 v34, vcc_lo, 0, v34, vcc_lo
	v_add_co_u32 v33, vcc_lo, 0, v39
	s_delay_alu instid0(VALU_DEP_2)
	v_add_co_ci_u32_e32 v34, vcc_lo, v40, v34, vcc_lo
; %bb.77:
	s_or_b32 exec_lo, exec_lo, s1
	v_mov_b32_dpp v40, v39 row_shr:4 row_mask:0xf bank_mask:0xf
	s_delay_alu instid0(VALU_DEP_2)
	v_mov_b32_dpp v39, v34 row_shr:4 row_mask:0xf bank_mask:0xf
	s_mov_b32 s1, exec_lo
	v_cmpx_lt_u32_e32 3, v38
; %bb.78:
	s_delay_alu instid0(VALU_DEP_3) | instskip(SKIP_1) | instid1(VALU_DEP_2)
	v_add_co_u32 v33, vcc_lo, v33, v40
	v_add_co_ci_u32_e32 v34, vcc_lo, 0, v34, vcc_lo
	v_add_co_u32 v33, vcc_lo, v33, 0
	s_delay_alu instid0(VALU_DEP_2)
	v_add_co_ci_u32_e32 v34, vcc_lo, v34, v39, vcc_lo
; %bb.79:
	s_or_b32 exec_lo, exec_lo, s1
	ds_store_b64 v35, v[33:34]
.LBB0_80:
	s_or_b32 exec_lo, exec_lo, s0
	v_mov_b32_e32 v33, 0
	v_mov_b32_e32 v34, 0
	s_mov_b32 s0, exec_lo
	s_waitcnt lgkmcnt(0)
	s_barrier
	buffer_gl0_inv
	v_cmpx_lt_u32_e32 31, v0
	s_cbranch_execz .LBB0_82
; %bb.81:
	v_lshl_add_u32 v33, v37, 3, -8
	ds_load_b64 v[33:34], v33
.LBB0_82:
	s_or_b32 exec_lo, exec_lo, s0
	v_add_nc_u32_e32 v37, -1, v36
	v_mul_u32_u24_e32 v56, 0x78, v0
	s_waitcnt lgkmcnt(0)
	s_barrier
	buffer_gl0_inv
	v_cmp_gt_i32_e32 vcc_lo, 0, v37
	s_add_i32 s17, s17, -1
	s_mov_b32 s0, -1
	s_cmp_lg_u32 s17, s18
	s_mov_b32 s17, 0
	v_cndmask_b32_e32 v37, v37, v36, vcc_lo
	v_add_co_u32 v31, vcc_lo, v33, v31
	v_add_co_ci_u32_e32 v32, vcc_lo, v34, v32, vcc_lo
	s_delay_alu instid0(VALU_DEP_3)
	v_lshlrev_b32_e32 v37, 2, v37
	v_cmp_eq_u32_e32 vcc_lo, 0, v36
	s_cselect_b32 s1, -1, 0
	ds_bpermute_b32 v31, v37, v31
	ds_bpermute_b32 v32, v37, v32
	s_waitcnt lgkmcnt(0)
	v_dual_cndmask_b32 v31, v31, v33 :: v_dual_cndmask_b32 v32, v32, v34
	v_cmp_ne_u32_e32 vcc_lo, 0, v0
	v_mul_i32_i24_e32 v33, 0xffffff90, v0
	s_delay_alu instid0(VALU_DEP_3) | instskip(NEXT) | instid1(VALU_DEP_2)
	v_dual_cndmask_b32 v31, 0, v31 :: v_dual_cndmask_b32 v32, 0, v32
	v_mad_u32_u24 v91, 0x78, v0, v33
	s_delay_alu instid0(VALU_DEP_2) | instskip(NEXT) | instid1(VALU_DEP_3)
	v_add_co_u32 v9, vcc_lo, v31, v9
	v_add_co_ci_u32_e32 v10, vcc_lo, v32, v10, vcc_lo
	s_delay_alu instid0(VALU_DEP_2) | instskip(NEXT) | instid1(VALU_DEP_2)
	v_add_co_u32 v11, vcc_lo, v9, v11
	v_add_co_ci_u32_e32 v12, vcc_lo, v10, v12, vcc_lo
	v_mov_b32_e32 v34, v10
	s_delay_alu instid0(VALU_DEP_3) | instskip(SKIP_1) | instid1(VALU_DEP_4)
	v_mov_b32_e32 v36, v11
	v_add_co_u32 v1, vcc_lo, v11, v1
	v_add_co_ci_u32_e32 v2, vcc_lo, v12, v2, vcc_lo
	ds_store_2addr_b64 v56, v[31:32], v[9:10] offset1:1
	ds_store_2addr_b64 v56, v[11:12], v[1:2] offset0:2 offset1:3
	v_add_co_u32 v3, vcc_lo, v1, v3
	v_add_co_ci_u32_e32 v4, vcc_lo, v2, v4, vcc_lo
	s_delay_alu instid0(VALU_DEP_2) | instskip(SKIP_1) | instid1(VALU_DEP_3)
	v_dual_mov_b32 v33, v9 :: v_dual_mov_b32 v46, v3
	v_add_co_u32 v5, vcc_lo, v3, v5
	v_add_co_ci_u32_e32 v6, vcc_lo, v4, v6, vcc_lo
	s_delay_alu instid0(VALU_DEP_2) | instskip(SKIP_1) | instid1(VALU_DEP_3)
	v_dual_mov_b32 v37, v12 :: v_dual_mov_b32 v52, v5
	v_add_co_u32 v38, vcc_lo, v5, v7
	v_add_co_ci_u32_e32 v39, vcc_lo, v6, v8, vcc_lo
	v_mov_b32_e32 v40, v1
	s_delay_alu instid0(VALU_DEP_3) | instskip(NEXT) | instid1(VALU_DEP_3)
	v_add_co_u32 v31, vcc_lo, v38, v25
	v_add_co_ci_u32_e32 v32, vcc_lo, v39, v26, vcc_lo
	v_mov_b32_e32 v41, v2
	s_delay_alu instid0(VALU_DEP_3) | instskip(NEXT) | instid1(VALU_DEP_3)
	;; [unrolled: 4-line block ×4, first 2 shown]
	v_add_co_u32 v48, vcc_lo, v44, v23
	v_add_co_ci_u32_e32 v49, vcc_lo, v45, v24, vcc_lo
	ds_store_2addr_b64 v56, v[3:4], v[5:6] offset0:4 offset1:5
	ds_store_2addr_b64 v56, v[38:39], v[31:32] offset0:6 offset1:7
	v_add_co_u32 v50, vcc_lo, v48, v17
	v_add_co_ci_u32_e32 v51, vcc_lo, v49, v18, vcc_lo
	ds_store_2addr_b64 v56, v[42:43], v[44:45] offset0:8 offset1:9
	ds_store_2addr_b64 v56, v[48:49], v[50:51] offset0:10 offset1:11
	v_add_co_u32 v54, vcc_lo, v50, v19
	v_add_co_ci_u32_e32 v55, vcc_lo, v51, v20, vcc_lo
	s_delay_alu instid0(VALU_DEP_2) | instskip(NEXT) | instid1(VALU_DEP_2)
	v_add_co_u32 v87, vcc_lo, v54, v13
	v_add_co_ci_u32_e32 v88, vcc_lo, v55, v14, vcc_lo
	s_delay_alu instid0(VALU_DEP_2) | instskip(NEXT) | instid1(VALU_DEP_2)
	v_add_co_u32 v89, vcc_lo, v87, v15
	v_add_co_ci_u32_e32 v90, vcc_lo, v88, v16, vcc_lo
	ds_store_2addr_b64 v56, v[54:55], v[87:88] offset0:12 offset1:13
	ds_store_b64 v56, v[89:90] offset:112
	v_add_co_u32 v29, vcc_lo, v29, v89
	v_add_co_ci_u32_e32 v30, vcc_lo, v30, v90, vcc_lo
	s_waitcnt lgkmcnt(0)
	s_barrier
	buffer_gl0_inv
	ds_load_b64 v[115:116], v35
	ds_load_2addr_stride64_b64 v[1:4], v91 offset0:4 offset1:8
	ds_load_2addr_stride64_b64 v[5:8], v91 offset0:12 offset1:16
	;; [unrolled: 1-line block ×7, first 2 shown]
	s_waitcnt lgkmcnt(0)
	s_barrier
	buffer_gl0_inv
	ds_store_2addr_b64 v56, v[33:34], v[36:37] offset1:1
	ds_store_2addr_b64 v56, v[40:41], v[46:47] offset0:2 offset1:3
	ds_store_2addr_b64 v56, v[52:53], v[38:39] offset0:4 offset1:5
	;; [unrolled: 1-line block ×6, first 2 shown]
	ds_store_b64 v56, v[29:30] offset:112
	s_waitcnt lgkmcnt(0)
	s_barrier
	buffer_gl0_inv
	ds_load_b64 v[121:122], v35
	ds_load_2addr_stride64_b64 v[29:32], v91 offset0:4 offset1:8
	ds_load_2addr_stride64_b64 v[33:36], v91 offset0:12 offset1:16
	;; [unrolled: 1-line block ×7, first 2 shown]
	v_cmp_eq_u32_e32 vcc_lo, 0xff, v0
	s_waitcnt lgkmcnt(0)
	s_barrier
	buffer_gl0_inv
	s_and_b32 s1, vcc_lo, s1
	s_cmp_lg_u32 s18, 0
	s_cbranch_scc0 .LBB0_100
; %bb.83:
	s_and_saveexec_b32 s0, s1
	s_cbranch_execz .LBB0_85
; %bb.84:
	s_lshl_b64 s[20:21], s[18:19], 3
	v_dual_mov_b32 v87, 0 :: v_dual_mov_b32 v88, 1
	s_add_u32 s20, s24, s20
	s_addc_u32 s21, s25, s21
	s_lshl_b64 s[30:31], s[18:19], 2
	global_store_b64 v87, v[55:56], s[20:21]
	s_add_u32 s30, s36, s30
	s_addc_u32 s31, s37, s31
	s_waitcnt_vscnt null, 0x0
	buffer_gl1_inv
	buffer_gl0_inv
	global_atomic_swap_b32 v87, v88, s[30:31]
.LBB0_85:
	s_or_b32 exec_lo, exec_lo, s0
	v_cmp_gt_u32_e32 vcc_lo, 0xc0, v0
                                        ; implicit-def: $vgpr87_vgpr88
                                        ; implicit-def: $vgpr89_vgpr90
                                        ; implicit-def: $vgpr93_vgpr94
                                        ; implicit-def: $vgpr97_vgpr98
                                        ; implicit-def: $vgpr101_vgpr102
                                        ; implicit-def: $vgpr105_vgpr106
                                        ; implicit-def: $vgpr109_vgpr110
                                        ; implicit-def: $vgpr113_vgpr114
                                        ; implicit-def: $vgpr119_vgpr120
                                        ; implicit-def: $vgpr125_vgpr126
                                        ; implicit-def: $vgpr129_vgpr130
                                        ; implicit-def: $vgpr133_vgpr134
                                        ; implicit-def: $vgpr137_vgpr138
                                        ; implicit-def: $vgpr141_vgpr142
                                        ; implicit-def: $vgpr145_vgpr146
                                        ; implicit-def: $vgpr91_vgpr92
                                        ; implicit-def: $vgpr95_vgpr96
                                        ; implicit-def: $vgpr99_vgpr100
                                        ; implicit-def: $vgpr103_vgpr104
                                        ; implicit-def: $vgpr107_vgpr108
                                        ; implicit-def: $vgpr111_vgpr112
                                        ; implicit-def: $vgpr117_vgpr118
                                        ; implicit-def: $vgpr123_vgpr124
                                        ; implicit-def: $vgpr127_vgpr128
                                        ; implicit-def: $vgpr131_vgpr132
                                        ; implicit-def: $vgpr135_vgpr136
                                        ; implicit-def: $vgpr139_vgpr140
                                        ; implicit-def: $vgpr143_vgpr144
                                        ; implicit-def: $vgpr147_vgpr148
                                        ; implicit-def: $vgpr149_vgpr150
	s_and_saveexec_b32 s0, vcc_lo
	s_delay_alu instid0(SALU_CYCLE_1)
	s_xor_b32 s0, exec_lo, s0
	s_cbranch_execz .LBB0_87
; %bb.86:
	s_mov_b64 s[20:21], src_shared_base
	s_delay_alu instid0(SALU_CYCLE_1)
	v_dual_mov_b32 v87, 0 :: v_dual_mov_b32 v88, s21
	s_waitcnt_vscnt null, 0x0
	s_barrier
	buffer_gl0_inv
	s_mov_b32 s17, exec_lo
	flat_load_b64 v[91:92], v[87:88] glc dlc
	s_waitcnt vmcnt(0)
                                        ; implicit-def: $vgpr0
	s_waitcnt vmcnt(0) lgkmcnt(0)
	v_add_co_u32 v145, vcc_lo, v91, v115
	v_add_co_ci_u32_e32 v146, vcc_lo, v92, v116, vcc_lo
	v_add_co_u32 v149, vcc_lo, v91, v121
	v_add_co_ci_u32_e32 v150, vcc_lo, v92, v122, vcc_lo
	v_add_co_u32 v141, vcc_lo, v91, v1
	v_add_co_ci_u32_e32 v142, vcc_lo, v92, v2, vcc_lo
	v_add_co_u32 v147, vcc_lo, v91, v29
	v_add_co_ci_u32_e32 v148, vcc_lo, v92, v30, vcc_lo
	v_add_co_u32 v137, vcc_lo, v91, v3
	v_add_co_ci_u32_e32 v138, vcc_lo, v92, v4, vcc_lo
	v_add_co_u32 v143, vcc_lo, v91, v31
	v_add_co_ci_u32_e32 v144, vcc_lo, v92, v32, vcc_lo
	v_add_co_u32 v133, vcc_lo, v91, v5
	v_add_co_ci_u32_e32 v134, vcc_lo, v92, v6, vcc_lo
	v_add_co_u32 v139, vcc_lo, v91, v33
	v_add_co_ci_u32_e32 v140, vcc_lo, v92, v34, vcc_lo
	v_add_co_u32 v129, vcc_lo, v91, v7
	v_add_co_ci_u32_e32 v130, vcc_lo, v92, v8, vcc_lo
	v_add_co_u32 v135, vcc_lo, v91, v35
	v_add_co_ci_u32_e32 v136, vcc_lo, v92, v36, vcc_lo
	v_add_co_u32 v125, vcc_lo, v91, v9
	v_add_co_ci_u32_e32 v126, vcc_lo, v92, v10, vcc_lo
	v_add_co_u32 v131, vcc_lo, v91, v37
	v_add_co_ci_u32_e32 v132, vcc_lo, v92, v38, vcc_lo
	v_add_co_u32 v119, vcc_lo, v91, v11
	v_add_co_ci_u32_e32 v120, vcc_lo, v92, v12, vcc_lo
	v_add_co_u32 v127, vcc_lo, v91, v39
	v_add_co_ci_u32_e32 v128, vcc_lo, v92, v40, vcc_lo
	v_add_co_u32 v113, vcc_lo, v91, v13
	v_add_co_ci_u32_e32 v114, vcc_lo, v92, v14, vcc_lo
	v_add_co_u32 v123, vcc_lo, v91, v41
	v_add_co_ci_u32_e32 v124, vcc_lo, v92, v42, vcc_lo
	v_add_co_u32 v109, vcc_lo, v91, v15
	v_add_co_ci_u32_e32 v110, vcc_lo, v92, v16, vcc_lo
	v_add_co_u32 v117, vcc_lo, v91, v43
	v_add_co_ci_u32_e32 v118, vcc_lo, v92, v44, vcc_lo
	v_add_co_u32 v105, vcc_lo, v91, v17
	v_add_co_ci_u32_e32 v106, vcc_lo, v92, v18, vcc_lo
	v_add_co_u32 v111, vcc_lo, v91, v45
	v_add_co_ci_u32_e32 v112, vcc_lo, v92, v46, vcc_lo
	v_add_co_u32 v101, vcc_lo, v91, v19
	v_add_co_ci_u32_e32 v102, vcc_lo, v92, v20, vcc_lo
	v_add_co_u32 v107, vcc_lo, v91, v47
	v_add_co_ci_u32_e32 v108, vcc_lo, v92, v48, vcc_lo
	v_add_co_u32 v97, vcc_lo, v91, v21
	v_add_co_ci_u32_e32 v98, vcc_lo, v92, v22, vcc_lo
	v_add_co_u32 v103, vcc_lo, v91, v49
	v_add_co_ci_u32_e32 v104, vcc_lo, v92, v50, vcc_lo
	v_add_co_u32 v93, vcc_lo, v91, v23
	v_add_co_ci_u32_e32 v94, vcc_lo, v92, v24, vcc_lo
	v_add_co_u32 v99, vcc_lo, v91, v51
	v_add_co_ci_u32_e32 v100, vcc_lo, v92, v52, vcc_lo
	v_add_co_u32 v89, vcc_lo, v91, v25
	v_add_co_ci_u32_e32 v90, vcc_lo, v92, v26, vcc_lo
	v_add_co_u32 v95, vcc_lo, v91, v53
	v_add_co_ci_u32_e32 v96, vcc_lo, v92, v54, vcc_lo
	v_add_co_u32 v87, vcc_lo, v91, v27
	v_add_co_ci_u32_e32 v88, vcc_lo, v92, v28, vcc_lo
	v_add_co_u32 v91, vcc_lo, v91, v55
	v_add_co_ci_u32_e32 v92, vcc_lo, v92, v56, vcc_lo
.LBB0_87:
	s_and_not1_saveexec_b32 s19, s0
	s_cbranch_execz .LBB0_97
; %bb.88:
	v_and_b32_e32 v0, 63, v0
	s_sub_i32 s0, s18, 64
	s_mov_b32 s18, 0
	s_cmp_lt_i32 s0, 0
	s_delay_alu instid0(VALU_DEP_1)
	v_add_nc_u32_e32 v87, s0, v0
	s_mov_b32 s0, -1
	s_cbranch_scc0 .LBB0_93
; %bb.89:
	v_mov_b32_e32 v88, 0
	s_delay_alu instid0(VALU_DEP_2) | instskip(NEXT) | instid1(VALU_DEP_2)
	v_cmp_lt_i32_e64 s0, -1, v87
	v_lshlrev_b64 v[90:91], 2, v[87:88]
	v_mov_b32_e32 v88, 11
	s_delay_alu instid0(VALU_DEP_1) | instskip(NEXT) | instid1(VALU_DEP_3)
	v_mov_b32_e32 v89, v88
	v_add_co_u32 v90, vcc_lo, s36, v90
	s_delay_alu instid0(VALU_DEP_4)
	v_add_co_ci_u32_e32 v91, vcc_lo, s37, v91, vcc_lo
	s_mov_b32 vcc_lo, 0
.LBB0_90:                               ; =>This Inner Loop Header: Depth=1
	s_and_b32 s20, exec_lo, s0
	s_delay_alu instid0(SALU_CYCLE_1) | instskip(NEXT) | instid1(SALU_CYCLE_1)
	s_or_b32 s18, s20, s18
	s_and_not1_b32 exec_lo, exec_lo, s18
	s_cbranch_execnz .LBB0_90
; %bb.91:                               ;   in Loop: Header=BB0_90 Depth=1
	s_or_b32 exec_lo, exec_lo, s18
	global_atomic_cmpswap_b32 v[90:91], v[88:89], off
	s_mov_b32 s18, 0
	s_cbranch_vccz .LBB0_90
; %bb.92:
	s_mov_b32 s0, 0
.LBB0_93:
	s_delay_alu instid0(SALU_CYCLE_1)
	s_and_b32 vcc_lo, exec_lo, s0
	s_cbranch_vccz .LBB0_96
; %bb.94:
	v_mov_b32_e32 v88, 0
	s_delay_alu instid0(VALU_DEP_1) | instskip(SKIP_1) | instid1(VALU_DEP_1)
	v_lshlrev_b64 v[89:90], 2, v[87:88]
	v_mov_b32_e32 v87, 11
	v_mov_b32_e32 v88, v87
	s_delay_alu instid0(VALU_DEP_3) | instskip(NEXT) | instid1(VALU_DEP_4)
	v_add_co_u32 v89, vcc_lo, s36, v89
	v_add_co_ci_u32_e32 v90, vcc_lo, s37, v90, vcc_lo
	s_mov_b32 vcc_lo, 0
.LBB0_95:                               ; =>This Inner Loop Header: Depth=1
	global_atomic_cmpswap_b32 v[89:90], v[87:88], off
	s_cbranch_vccz .LBB0_95
.LBB0_96:
                                        ; implicit-def: $vgpr87_vgpr88
                                        ; implicit-def: $vgpr89_vgpr90
                                        ; implicit-def: $vgpr93_vgpr94
                                        ; implicit-def: $vgpr97_vgpr98
                                        ; implicit-def: $vgpr101_vgpr102
                                        ; implicit-def: $vgpr105_vgpr106
                                        ; implicit-def: $vgpr109_vgpr110
                                        ; implicit-def: $vgpr113_vgpr114
                                        ; implicit-def: $vgpr119_vgpr120
                                        ; implicit-def: $vgpr125_vgpr126
                                        ; implicit-def: $vgpr129_vgpr130
                                        ; implicit-def: $vgpr133_vgpr134
                                        ; implicit-def: $vgpr137_vgpr138
                                        ; implicit-def: $vgpr141_vgpr142
                                        ; implicit-def: $vgpr145_vgpr146
                                        ; implicit-def: $vgpr91_vgpr92
                                        ; implicit-def: $vgpr95_vgpr96
                                        ; implicit-def: $vgpr99_vgpr100
                                        ; implicit-def: $vgpr103_vgpr104
                                        ; implicit-def: $vgpr107_vgpr108
                                        ; implicit-def: $vgpr111_vgpr112
                                        ; implicit-def: $vgpr117_vgpr118
                                        ; implicit-def: $vgpr123_vgpr124
                                        ; implicit-def: $vgpr127_vgpr128
                                        ; implicit-def: $vgpr131_vgpr132
                                        ; implicit-def: $vgpr135_vgpr136
                                        ; implicit-def: $vgpr139_vgpr140
                                        ; implicit-def: $vgpr143_vgpr144
                                        ; implicit-def: $vgpr147_vgpr148
                                        ; implicit-def: $vgpr149_vgpr150
.LBB0_97:
	s_or_b32 exec_lo, exec_lo, s19
.LBB0_98:
	s_and_saveexec_b32 s0, s17
	s_cbranch_execnz .LBB0_104
.LBB0_99:
	s_nop 0
	s_sendmsg sendmsg(MSG_DEALLOC_VGPRS)
	s_endpgm
.LBB0_100:
                                        ; implicit-def: $vgpr87_vgpr88
                                        ; implicit-def: $vgpr89_vgpr90
                                        ; implicit-def: $vgpr93_vgpr94
                                        ; implicit-def: $vgpr97_vgpr98
                                        ; implicit-def: $vgpr101_vgpr102
                                        ; implicit-def: $vgpr105_vgpr106
                                        ; implicit-def: $vgpr109_vgpr110
                                        ; implicit-def: $vgpr113_vgpr114
                                        ; implicit-def: $vgpr119_vgpr120
                                        ; implicit-def: $vgpr125_vgpr126
                                        ; implicit-def: $vgpr129_vgpr130
                                        ; implicit-def: $vgpr133_vgpr134
                                        ; implicit-def: $vgpr137_vgpr138
                                        ; implicit-def: $vgpr141_vgpr142
                                        ; implicit-def: $vgpr145_vgpr146
                                        ; implicit-def: $vgpr91_vgpr92
                                        ; implicit-def: $vgpr95_vgpr96
                                        ; implicit-def: $vgpr99_vgpr100
                                        ; implicit-def: $vgpr103_vgpr104
                                        ; implicit-def: $vgpr107_vgpr108
                                        ; implicit-def: $vgpr111_vgpr112
                                        ; implicit-def: $vgpr117_vgpr118
                                        ; implicit-def: $vgpr123_vgpr124
                                        ; implicit-def: $vgpr127_vgpr128
                                        ; implicit-def: $vgpr131_vgpr132
                                        ; implicit-def: $vgpr135_vgpr136
                                        ; implicit-def: $vgpr139_vgpr140
                                        ; implicit-def: $vgpr143_vgpr144
                                        ; implicit-def: $vgpr147_vgpr148
                                        ; implicit-def: $vgpr149_vgpr150
	s_and_b32 vcc_lo, exec_lo, s0
	s_cbranch_vccz .LBB0_98
; %bb.101:
	s_and_saveexec_b32 s0, s1
	s_cbranch_execz .LBB0_103
; %bb.102:
	v_dual_mov_b32 v0, 0 :: v_dual_mov_b32 v87, 2
	s_clause 0x1
	global_store_b64 v0, v[55:56], s[24:25]
	global_store_b64 v0, v[55:56], s[26:27]
	s_waitcnt_vscnt null, 0x0
	buffer_gl1_inv
	buffer_gl0_inv
	global_atomic_swap_b32 v0, v87, s[36:37]
.LBB0_103:
	s_or_b32 exec_lo, exec_lo, s0
	v_dual_mov_b32 v88, v28 :: v_dual_mov_b32 v87, v27
	v_dual_mov_b32 v90, v26 :: v_dual_mov_b32 v89, v25
	;; [unrolled: 1-line block ×30, first 2 shown]
	s_mov_b32 s17, -1
	s_delay_alu instid0(SALU_CYCLE_1)
	s_and_saveexec_b32 s0, s17
	s_cbranch_execz .LBB0_99
.LBB0_104:
	s_add_u32 s0, s28, -1
	s_addc_u32 s1, s29, -1
	s_and_saveexec_b32 s17, s2
	s_cbranch_execz .LBB0_109
; %bb.105:
	s_mov_b32 s2, exec_lo
	v_cmpx_ne_u64_e64 v[145:146], v[149:150]
	s_cbranch_execz .LBB0_107
; %bb.106:
	v_lshlrev_b64 v[0:1], 2, v[145:146]
	s_delay_alu instid0(VALU_DEP_1) | instskip(NEXT) | instid1(VALU_DEP_2)
	v_add_co_u32 v0, vcc_lo, s22, v0
	v_add_co_ci_u32_e32 v1, vcc_lo, s23, v1, vcc_lo
	global_store_b32 v[0:1], v57, off
.LBB0_107:
	s_or_b32 exec_lo, exec_lo, s2
	v_cmp_eq_u64_e32 vcc_lo, s[0:1], v[57:58]
	s_and_b32 exec_lo, exec_lo, vcc_lo
	s_cbranch_execz .LBB0_109
; %bb.108:
	v_mov_b32_e32 v0, 0
	global_store_b64 v0, v[149:150], s[38:39]
.LBB0_109:
	s_or_b32 exec_lo, exec_lo, s17
	s_and_saveexec_b32 s2, s3
	s_cbranch_execz .LBB0_114
; %bb.110:
	s_mov_b32 s3, exec_lo
	v_cmpx_ne_u64_e64 v[141:142], v[147:148]
	s_cbranch_execz .LBB0_112
; %bb.111:
	v_lshlrev_b64 v[0:1], 2, v[141:142]
	s_delay_alu instid0(VALU_DEP_1) | instskip(NEXT) | instid1(VALU_DEP_2)
	v_add_co_u32 v0, vcc_lo, s22, v0
	v_add_co_ci_u32_e32 v1, vcc_lo, s23, v1, vcc_lo
	global_store_b32 v[0:1], v61, off
.LBB0_112:
	s_or_b32 exec_lo, exec_lo, s3
	v_cmp_eq_u64_e32 vcc_lo, s[0:1], v[61:62]
	s_and_b32 exec_lo, exec_lo, vcc_lo
	s_cbranch_execz .LBB0_114
; %bb.113:
	v_mov_b32_e32 v0, 0
	global_store_b64 v0, v[147:148], s[38:39]
.LBB0_114:
	s_or_b32 exec_lo, exec_lo, s2
	;; [unrolled: 22-line block ×14, first 2 shown]
	s_delay_alu instid0(SALU_CYCLE_1)
	s_and_b32 exec_lo, exec_lo, s16
	s_cbranch_execz .LBB0_99
; %bb.175:
	s_mov_b32 s2, exec_lo
	v_cmpx_ne_u64_e64 v[87:88], v[91:92]
	s_cbranch_execz .LBB0_177
; %bb.176:
	v_lshlrev_b64 v[0:1], 2, v[87:88]
	s_delay_alu instid0(VALU_DEP_1) | instskip(NEXT) | instid1(VALU_DEP_2)
	v_add_co_u32 v0, vcc_lo, s22, v0
	v_add_co_ci_u32_e32 v1, vcc_lo, s23, v1, vcc_lo
	global_store_b32 v[0:1], v85, off
.LBB0_177:
	s_or_b32 exec_lo, exec_lo, s2
	v_cmp_eq_u64_e32 vcc_lo, s[0:1], v[85:86]
	s_and_b32 exec_lo, exec_lo, vcc_lo
	s_cbranch_execz .LBB0_99
; %bb.178:
	v_mov_b32_e32 v0, 0
	global_store_b64 v0, v[91:92], s[38:39]
	s_nop 0
	s_sendmsg sendmsg(MSG_DEALLOC_VGPRS)
	s_endpgm
	.section	.rodata,"a",@progbits
	.p2align	6, 0x0
	.amdhsa_kernel _ZN8rajaperf5basic16indexlist_customILm256ELm15EEEvPdPiPlS4_PjS4_l
		.amdhsa_group_segment_fixed_size 30720
		.amdhsa_private_segment_fixed_size 0
		.amdhsa_kernarg_size 312
		.amdhsa_user_sgpr_count 15
		.amdhsa_user_sgpr_dispatch_ptr 0
		.amdhsa_user_sgpr_queue_ptr 0
		.amdhsa_user_sgpr_kernarg_segment_ptr 1
		.amdhsa_user_sgpr_dispatch_id 0
		.amdhsa_user_sgpr_private_segment_size 0
		.amdhsa_wavefront_size32 1
		.amdhsa_uses_dynamic_stack 0
		.amdhsa_enable_private_segment 0
		.amdhsa_system_sgpr_workgroup_id_x 1
		.amdhsa_system_sgpr_workgroup_id_y 0
		.amdhsa_system_sgpr_workgroup_id_z 0
		.amdhsa_system_sgpr_workgroup_info 0
		.amdhsa_system_vgpr_workitem_id 0
		.amdhsa_next_free_vgpr 151
		.amdhsa_next_free_sgpr 40
		.amdhsa_reserve_vcc 1
		.amdhsa_float_round_mode_32 0
		.amdhsa_float_round_mode_16_64 0
		.amdhsa_float_denorm_mode_32 3
		.amdhsa_float_denorm_mode_16_64 3
		.amdhsa_dx10_clamp 1
		.amdhsa_ieee_mode 1
		.amdhsa_fp16_overflow 0
		.amdhsa_workgroup_processor_mode 1
		.amdhsa_memory_ordered 1
		.amdhsa_forward_progress 0
		.amdhsa_shared_vgpr_count 0
		.amdhsa_exception_fp_ieee_invalid_op 0
		.amdhsa_exception_fp_denorm_src 0
		.amdhsa_exception_fp_ieee_div_zero 0
		.amdhsa_exception_fp_ieee_overflow 0
		.amdhsa_exception_fp_ieee_underflow 0
		.amdhsa_exception_fp_ieee_inexact 0
		.amdhsa_exception_int_div_zero 0
	.end_amdhsa_kernel
	.section	.text._ZN8rajaperf5basic16indexlist_customILm256ELm15EEEvPdPiPlS4_PjS4_l,"axG",@progbits,_ZN8rajaperf5basic16indexlist_customILm256ELm15EEEvPdPiPlS4_PjS4_l,comdat
.Lfunc_end0:
	.size	_ZN8rajaperf5basic16indexlist_customILm256ELm15EEEvPdPiPlS4_PjS4_l, .Lfunc_end0-_ZN8rajaperf5basic16indexlist_customILm256ELm15EEEvPdPiPlS4_PjS4_l
                                        ; -- End function
	.section	.AMDGPU.csdata,"",@progbits
; Kernel info:
; codeLenInByte = 6072
; NumSgprs: 42
; NumVgprs: 151
; ScratchSize: 0
; MemoryBound: 0
; FloatMode: 240
; IeeeMode: 1
; LDSByteSize: 30720 bytes/workgroup (compile time only)
; SGPRBlocks: 5
; VGPRBlocks: 18
; NumSGPRsForWavesPerEU: 42
; NumVGPRsForWavesPerEU: 151
; Occupancy: 8
; WaveLimiterHint : 0
; COMPUTE_PGM_RSRC2:SCRATCH_EN: 0
; COMPUTE_PGM_RSRC2:USER_SGPR: 15
; COMPUTE_PGM_RSRC2:TRAP_HANDLER: 0
; COMPUTE_PGM_RSRC2:TGID_X_EN: 1
; COMPUTE_PGM_RSRC2:TGID_Y_EN: 0
; COMPUTE_PGM_RSRC2:TGID_Z_EN: 0
; COMPUTE_PGM_RSRC2:TIDIG_COMP_CNT: 0
	.text
	.p2alignl 7, 3214868480
	.fill 96, 4, 3214868480
	.type	__hip_cuid_9761c255bd536736,@object ; @__hip_cuid_9761c255bd536736
	.section	.bss,"aw",@nobits
	.globl	__hip_cuid_9761c255bd536736
__hip_cuid_9761c255bd536736:
	.byte	0                               ; 0x0
	.size	__hip_cuid_9761c255bd536736, 1

	.ident	"AMD clang version 19.0.0git (https://github.com/RadeonOpenCompute/llvm-project roc-6.4.0 25133 c7fe45cf4b819c5991fe208aaa96edf142730f1d)"
	.section	".note.GNU-stack","",@progbits
	.addrsig
	.addrsig_sym __hip_cuid_9761c255bd536736
	.amdgpu_metadata
---
amdhsa.kernels:
  - .args:
      - .address_space:  global
        .offset:         0
        .size:           8
        .value_kind:     global_buffer
      - .address_space:  global
        .offset:         8
        .size:           8
        .value_kind:     global_buffer
      - .address_space:  global
        .offset:         16
        .size:           8
        .value_kind:     global_buffer
      - .address_space:  global
        .offset:         24
        .size:           8
        .value_kind:     global_buffer
      - .address_space:  global
        .offset:         32
        .size:           8
        .value_kind:     global_buffer
      - .address_space:  global
        .offset:         40
        .size:           8
        .value_kind:     global_buffer
      - .offset:         48
        .size:           8
        .value_kind:     by_value
      - .offset:         56
        .size:           4
        .value_kind:     hidden_block_count_x
      - .offset:         60
        .size:           4
        .value_kind:     hidden_block_count_y
      - .offset:         64
        .size:           4
        .value_kind:     hidden_block_count_z
      - .offset:         68
        .size:           2
        .value_kind:     hidden_group_size_x
      - .offset:         70
        .size:           2
        .value_kind:     hidden_group_size_y
      - .offset:         72
        .size:           2
        .value_kind:     hidden_group_size_z
      - .offset:         74
        .size:           2
        .value_kind:     hidden_remainder_x
      - .offset:         76
        .size:           2
        .value_kind:     hidden_remainder_y
      - .offset:         78
        .size:           2
        .value_kind:     hidden_remainder_z
      - .offset:         96
        .size:           8
        .value_kind:     hidden_global_offset_x
      - .offset:         104
        .size:           8
        .value_kind:     hidden_global_offset_y
      - .offset:         112
        .size:           8
        .value_kind:     hidden_global_offset_z
      - .offset:         120
        .size:           2
        .value_kind:     hidden_grid_dims
    .group_segment_fixed_size: 30720
    .kernarg_segment_align: 8
    .kernarg_segment_size: 312
    .language:       OpenCL C
    .language_version:
      - 2
      - 0
    .max_flat_workgroup_size: 256
    .name:           _ZN8rajaperf5basic16indexlist_customILm256ELm15EEEvPdPiPlS4_PjS4_l
    .private_segment_fixed_size: 0
    .sgpr_count:     42
    .sgpr_spill_count: 0
    .symbol:         _ZN8rajaperf5basic16indexlist_customILm256ELm15EEEvPdPiPlS4_PjS4_l.kd
    .uniform_work_group_size: 1
    .uses_dynamic_stack: false
    .vgpr_count:     151
    .vgpr_spill_count: 0
    .wavefront_size: 32
    .workgroup_processor_mode: 1
amdhsa.target:   amdgcn-amd-amdhsa--gfx1100
amdhsa.version:
  - 1
  - 2
...

	.end_amdgpu_metadata
